;; amdgpu-corpus repo=ROCm/rocFFT kind=compiled arch=gfx1030 opt=O3
	.text
	.amdgcn_target "amdgcn-amd-amdhsa--gfx1030"
	.amdhsa_code_object_version 6
	.protected	fft_rtc_fwd_len1950_factors_13_5_10_3_wgs_195_tpt_195_sp_op_CI_CI_unitstride_sbrr_C2R_dirReg ; -- Begin function fft_rtc_fwd_len1950_factors_13_5_10_3_wgs_195_tpt_195_sp_op_CI_CI_unitstride_sbrr_C2R_dirReg
	.globl	fft_rtc_fwd_len1950_factors_13_5_10_3_wgs_195_tpt_195_sp_op_CI_CI_unitstride_sbrr_C2R_dirReg
	.p2align	8
	.type	fft_rtc_fwd_len1950_factors_13_5_10_3_wgs_195_tpt_195_sp_op_CI_CI_unitstride_sbrr_C2R_dirReg,@function
fft_rtc_fwd_len1950_factors_13_5_10_3_wgs_195_tpt_195_sp_op_CI_CI_unitstride_sbrr_C2R_dirReg: ; @fft_rtc_fwd_len1950_factors_13_5_10_3_wgs_195_tpt_195_sp_op_CI_CI_unitstride_sbrr_C2R_dirReg
; %bb.0:
	s_clause 0x2
	s_load_dwordx4 s[12:15], s[4:5], 0x0
	s_load_dwordx4 s[8:11], s[4:5], 0x58
	;; [unrolled: 1-line block ×3, first 2 shown]
	v_mul_u32_u24_e32 v1, 0x151, v0
	v_mov_b32_e32 v3, 0
	v_add_nc_u32_sdwa v5, s6, v1 dst_sel:DWORD dst_unused:UNUSED_PAD src0_sel:DWORD src1_sel:WORD_1
	v_mov_b32_e32 v1, 0
	v_mov_b32_e32 v6, v3
	v_mov_b32_e32 v2, 0
	s_waitcnt lgkmcnt(0)
	v_cmp_lt_u64_e64 s0, s[14:15], 2
	s_and_b32 vcc_lo, exec_lo, s0
	s_cbranch_vccnz .LBB0_8
; %bb.1:
	s_load_dwordx2 s[0:1], s[4:5], 0x10
	v_mov_b32_e32 v1, 0
	v_mov_b32_e32 v2, 0
	s_add_u32 s2, s18, 8
	s_addc_u32 s3, s19, 0
	s_add_u32 s6, s16, 8
	s_addc_u32 s7, s17, 0
	v_mov_b32_e32 v25, v2
	v_mov_b32_e32 v24, v1
	s_mov_b64 s[22:23], 1
	s_waitcnt lgkmcnt(0)
	s_add_u32 s20, s0, 8
	s_addc_u32 s21, s1, 0
.LBB0_2:                                ; =>This Inner Loop Header: Depth=1
	s_load_dwordx2 s[24:25], s[20:21], 0x0
                                        ; implicit-def: $vgpr26_vgpr27
	s_mov_b32 s0, exec_lo
	s_waitcnt lgkmcnt(0)
	v_or_b32_e32 v4, s25, v6
	v_cmpx_ne_u64_e32 0, v[3:4]
	s_xor_b32 s1, exec_lo, s0
	s_cbranch_execz .LBB0_4
; %bb.3:                                ;   in Loop: Header=BB0_2 Depth=1
	v_cvt_f32_u32_e32 v4, s24
	v_cvt_f32_u32_e32 v7, s25
	s_sub_u32 s0, 0, s24
	s_subb_u32 s26, 0, s25
	v_fmac_f32_e32 v4, 0x4f800000, v7
	v_rcp_f32_e32 v4, v4
	v_mul_f32_e32 v4, 0x5f7ffffc, v4
	v_mul_f32_e32 v7, 0x2f800000, v4
	v_trunc_f32_e32 v7, v7
	v_fmac_f32_e32 v4, 0xcf800000, v7
	v_cvt_u32_f32_e32 v7, v7
	v_cvt_u32_f32_e32 v4, v4
	v_mul_lo_u32 v8, s0, v7
	v_mul_hi_u32 v9, s0, v4
	v_mul_lo_u32 v10, s26, v4
	v_add_nc_u32_e32 v8, v9, v8
	v_mul_lo_u32 v9, s0, v4
	v_add_nc_u32_e32 v8, v8, v10
	v_mul_hi_u32 v10, v4, v9
	v_mul_lo_u32 v11, v4, v8
	v_mul_hi_u32 v12, v4, v8
	v_mul_hi_u32 v13, v7, v9
	v_mul_lo_u32 v9, v7, v9
	v_mul_hi_u32 v14, v7, v8
	v_mul_lo_u32 v8, v7, v8
	v_add_co_u32 v10, vcc_lo, v10, v11
	v_add_co_ci_u32_e32 v11, vcc_lo, 0, v12, vcc_lo
	v_add_co_u32 v9, vcc_lo, v10, v9
	v_add_co_ci_u32_e32 v9, vcc_lo, v11, v13, vcc_lo
	v_add_co_ci_u32_e32 v10, vcc_lo, 0, v14, vcc_lo
	v_add_co_u32 v8, vcc_lo, v9, v8
	v_add_co_ci_u32_e32 v9, vcc_lo, 0, v10, vcc_lo
	v_add_co_u32 v4, vcc_lo, v4, v8
	v_add_co_ci_u32_e32 v7, vcc_lo, v7, v9, vcc_lo
	v_mul_hi_u32 v8, s0, v4
	v_mul_lo_u32 v10, s26, v4
	v_mul_lo_u32 v9, s0, v7
	v_add_nc_u32_e32 v8, v8, v9
	v_mul_lo_u32 v9, s0, v4
	v_add_nc_u32_e32 v8, v8, v10
	v_mul_hi_u32 v10, v4, v9
	v_mul_lo_u32 v11, v4, v8
	v_mul_hi_u32 v12, v4, v8
	v_mul_hi_u32 v13, v7, v9
	v_mul_lo_u32 v9, v7, v9
	v_mul_hi_u32 v14, v7, v8
	v_mul_lo_u32 v8, v7, v8
	v_add_co_u32 v10, vcc_lo, v10, v11
	v_add_co_ci_u32_e32 v11, vcc_lo, 0, v12, vcc_lo
	v_add_co_u32 v9, vcc_lo, v10, v9
	v_add_co_ci_u32_e32 v9, vcc_lo, v11, v13, vcc_lo
	v_add_co_ci_u32_e32 v10, vcc_lo, 0, v14, vcc_lo
	v_add_co_u32 v8, vcc_lo, v9, v8
	v_add_co_ci_u32_e32 v9, vcc_lo, 0, v10, vcc_lo
	v_add_co_u32 v4, vcc_lo, v4, v8
	v_add_co_ci_u32_e32 v11, vcc_lo, v7, v9, vcc_lo
	v_mul_hi_u32 v13, v5, v4
	v_mad_u64_u32 v[9:10], null, v6, v4, 0
	v_mad_u64_u32 v[7:8], null, v5, v11, 0
	;; [unrolled: 1-line block ×3, first 2 shown]
	v_add_co_u32 v4, vcc_lo, v13, v7
	v_add_co_ci_u32_e32 v7, vcc_lo, 0, v8, vcc_lo
	v_add_co_u32 v4, vcc_lo, v4, v9
	v_add_co_ci_u32_e32 v4, vcc_lo, v7, v10, vcc_lo
	v_add_co_ci_u32_e32 v7, vcc_lo, 0, v12, vcc_lo
	v_add_co_u32 v4, vcc_lo, v4, v11
	v_add_co_ci_u32_e32 v9, vcc_lo, 0, v7, vcc_lo
	v_mul_lo_u32 v10, s25, v4
	v_mad_u64_u32 v[7:8], null, s24, v4, 0
	v_mul_lo_u32 v11, s24, v9
	v_sub_co_u32 v7, vcc_lo, v5, v7
	v_add3_u32 v8, v8, v11, v10
	v_sub_nc_u32_e32 v10, v6, v8
	v_subrev_co_ci_u32_e64 v10, s0, s25, v10, vcc_lo
	v_add_co_u32 v11, s0, v4, 2
	v_add_co_ci_u32_e64 v12, s0, 0, v9, s0
	v_sub_co_u32 v13, s0, v7, s24
	v_sub_co_ci_u32_e32 v8, vcc_lo, v6, v8, vcc_lo
	v_subrev_co_ci_u32_e64 v10, s0, 0, v10, s0
	v_cmp_le_u32_e32 vcc_lo, s24, v13
	v_cmp_eq_u32_e64 s0, s25, v8
	v_cndmask_b32_e64 v13, 0, -1, vcc_lo
	v_cmp_le_u32_e32 vcc_lo, s25, v10
	v_cndmask_b32_e64 v14, 0, -1, vcc_lo
	v_cmp_le_u32_e32 vcc_lo, s24, v7
	;; [unrolled: 2-line block ×3, first 2 shown]
	v_cndmask_b32_e64 v15, 0, -1, vcc_lo
	v_cmp_eq_u32_e32 vcc_lo, s25, v10
	v_cndmask_b32_e64 v7, v15, v7, s0
	v_cndmask_b32_e32 v10, v14, v13, vcc_lo
	v_add_co_u32 v13, vcc_lo, v4, 1
	v_add_co_ci_u32_e32 v14, vcc_lo, 0, v9, vcc_lo
	v_cmp_ne_u32_e32 vcc_lo, 0, v10
	v_cndmask_b32_e32 v8, v14, v12, vcc_lo
	v_cndmask_b32_e32 v10, v13, v11, vcc_lo
	v_cmp_ne_u32_e32 vcc_lo, 0, v7
	v_cndmask_b32_e32 v27, v9, v8, vcc_lo
	v_cndmask_b32_e32 v26, v4, v10, vcc_lo
.LBB0_4:                                ;   in Loop: Header=BB0_2 Depth=1
	s_andn2_saveexec_b32 s0, s1
	s_cbranch_execz .LBB0_6
; %bb.5:                                ;   in Loop: Header=BB0_2 Depth=1
	v_cvt_f32_u32_e32 v4, s24
	s_sub_i32 s1, 0, s24
	v_mov_b32_e32 v27, v3
	v_rcp_iflag_f32_e32 v4, v4
	v_mul_f32_e32 v4, 0x4f7ffffe, v4
	v_cvt_u32_f32_e32 v4, v4
	v_mul_lo_u32 v7, s1, v4
	v_mul_hi_u32 v7, v4, v7
	v_add_nc_u32_e32 v4, v4, v7
	v_mul_hi_u32 v4, v5, v4
	v_mul_lo_u32 v7, v4, s24
	v_add_nc_u32_e32 v8, 1, v4
	v_sub_nc_u32_e32 v7, v5, v7
	v_subrev_nc_u32_e32 v9, s24, v7
	v_cmp_le_u32_e32 vcc_lo, s24, v7
	v_cndmask_b32_e32 v7, v7, v9, vcc_lo
	v_cndmask_b32_e32 v4, v4, v8, vcc_lo
	v_cmp_le_u32_e32 vcc_lo, s24, v7
	v_add_nc_u32_e32 v8, 1, v4
	v_cndmask_b32_e32 v26, v4, v8, vcc_lo
.LBB0_6:                                ;   in Loop: Header=BB0_2 Depth=1
	s_or_b32 exec_lo, exec_lo, s0
	v_mul_lo_u32 v4, v27, s24
	v_mul_lo_u32 v9, v26, s25
	s_load_dwordx2 s[0:1], s[6:7], 0x0
	v_mad_u64_u32 v[7:8], null, v26, s24, 0
	s_load_dwordx2 s[24:25], s[2:3], 0x0
	s_add_u32 s22, s22, 1
	s_addc_u32 s23, s23, 0
	s_add_u32 s2, s2, 8
	s_addc_u32 s3, s3, 0
	s_add_u32 s6, s6, 8
	v_add3_u32 v4, v8, v9, v4
	v_sub_co_u32 v5, vcc_lo, v5, v7
	s_addc_u32 s7, s7, 0
	s_add_u32 s20, s20, 8
	v_sub_co_ci_u32_e32 v4, vcc_lo, v6, v4, vcc_lo
	s_addc_u32 s21, s21, 0
	s_waitcnt lgkmcnt(0)
	v_mul_lo_u32 v6, s0, v4
	v_mul_lo_u32 v7, s1, v5
	v_mad_u64_u32 v[1:2], null, s0, v5, v[1:2]
	v_mul_lo_u32 v4, s24, v4
	v_mul_lo_u32 v8, s25, v5
	v_mad_u64_u32 v[24:25], null, s24, v5, v[24:25]
	v_cmp_ge_u64_e64 s0, s[22:23], s[14:15]
	v_add3_u32 v2, v7, v2, v6
	v_add3_u32 v25, v8, v25, v4
	s_and_b32 vcc_lo, exec_lo, s0
	s_cbranch_vccnz .LBB0_9
; %bb.7:                                ;   in Loop: Header=BB0_2 Depth=1
	v_mov_b32_e32 v5, v26
	v_mov_b32_e32 v6, v27
	s_branch .LBB0_2
.LBB0_8:
	v_mov_b32_e32 v25, v2
	v_mov_b32_e32 v27, v6
	;; [unrolled: 1-line block ×4, first 2 shown]
.LBB0_9:
	s_load_dwordx2 s[0:1], s[4:5], 0x28
	v_mul_hi_u32 v3, 0x1501502, v0
	s_lshl_b64 s[4:5], s[14:15], 3
                                        ; implicit-def: $vgpr28
	s_add_u32 s2, s18, s4
	s_addc_u32 s3, s19, s5
	s_waitcnt lgkmcnt(0)
	v_cmp_gt_u64_e32 vcc_lo, s[0:1], v[26:27]
	v_cmp_le_u64_e64 s0, s[0:1], v[26:27]
	s_and_saveexec_b32 s1, s0
	s_xor_b32 s0, exec_lo, s1
; %bb.10:
	v_mul_u32_u24_e32 v1, 0xc3, v3
                                        ; implicit-def: $vgpr3
	v_sub_nc_u32_e32 v28, v0, v1
                                        ; implicit-def: $vgpr0
                                        ; implicit-def: $vgpr1_vgpr2
; %bb.11:
	s_or_saveexec_b32 s1, s0
	s_load_dwordx2 s[2:3], s[2:3], 0x0
	s_xor_b32 exec_lo, exec_lo, s1
	s_cbranch_execz .LBB0_15
; %bb.12:
	s_add_u32 s4, s16, s4
	s_addc_u32 s5, s17, s5
	v_lshlrev_b64 v[1:2], 3, v[1:2]
	s_load_dwordx2 s[4:5], s[4:5], 0x0
	s_waitcnt lgkmcnt(0)
	v_mul_lo_u32 v6, s5, v26
	v_mul_lo_u32 v7, s4, v27
	v_mad_u64_u32 v[4:5], null, s4, v26, 0
	s_mov_b32 s4, exec_lo
	v_add3_u32 v5, v5, v7, v6
	v_mul_u32_u24_e32 v6, 0xc3, v3
	v_lshlrev_b64 v[3:4], 3, v[4:5]
	v_sub_nc_u32_e32 v28, v0, v6
	v_lshlrev_b32_e32 v22, 3, v28
	v_add_co_u32 v0, s0, s8, v3
	v_add_co_ci_u32_e64 v3, s0, s9, v4, s0
	v_add_co_u32 v0, s0, v0, v1
	v_add_co_ci_u32_e64 v1, s0, v3, v2, s0
	;; [unrolled: 2-line block ×3, first 2 shown]
	v_add_nc_u32_e32 v22, 0, v22
	v_add_co_u32 v4, s0, 0x800, v2
	v_add_co_ci_u32_e64 v5, s0, 0, v3, s0
	v_add_co_u32 v6, s0, 0x1000, v2
	v_add_co_ci_u32_e64 v7, s0, 0, v3, s0
	;; [unrolled: 2-line block ×6, first 2 shown]
	s_clause 0x9
	global_load_dwordx2 v[16:17], v[2:3], off
	global_load_dwordx2 v[2:3], v[2:3], off offset:1560
	global_load_dwordx2 v[4:5], v[4:5], off offset:1072
	;; [unrolled: 1-line block ×9, first 2 shown]
	v_add_nc_u32_e32 v23, 0xc00, v22
	v_add_nc_u32_e32 v29, 0x1800, v22
	;; [unrolled: 1-line block ×4, first 2 shown]
	s_waitcnt vmcnt(8)
	ds_write2_b64 v22, v[16:17], v[2:3] offset1:195
	s_waitcnt vmcnt(6)
	ds_write2_b64 v23, v[4:5], v[6:7] offset0:6 offset1:201
	s_waitcnt vmcnt(4)
	ds_write2_b64 v29, v[18:19], v[8:9] offset0:12 offset1:207
	;; [unrolled: 2-line block ×4, first 2 shown]
	v_cmpx_eq_u32_e32 0xc2, v28
	s_cbranch_execz .LBB0_14
; %bb.13:
	v_add_co_u32 v0, s0, 0x3800, v0
	v_add_co_ci_u32_e64 v1, s0, 0, v1, s0
	v_mov_b32_e32 v2, 0
	v_mov_b32_e32 v28, 0xc2
	global_load_dwordx2 v[0:1], v[0:1], off offset:1264
	s_waitcnt vmcnt(0)
	ds_write_b64 v2, v[0:1] offset:15600
.LBB0_14:
	s_or_b32 exec_lo, exec_lo, s4
.LBB0_15:
	s_or_b32 exec_lo, exec_lo, s1
	v_lshlrev_b32_e32 v0, 3, v28
	s_waitcnt lgkmcnt(0)
	s_barrier
	buffer_gl0_inv
	s_add_u32 s1, s12, 0x3c88
	v_add_nc_u32_e32 v35, 0, v0
	v_sub_nc_u32_e32 v4, 0, v0
	s_addc_u32 s4, s13, 0
	s_mov_b32 s5, exec_lo
                                        ; implicit-def: $vgpr2_vgpr3
	ds_read_b32 v5, v35
	ds_read_b32 v6, v4 offset:15600
	s_waitcnt lgkmcnt(0)
	v_add_f32_e32 v0, v6, v5
	v_sub_f32_e32 v1, v5, v6
	v_cmpx_ne_u32_e32 0, v28
	s_xor_b32 s5, exec_lo, s5
	s_cbranch_execz .LBB0_17
; %bb.16:
	v_mov_b32_e32 v29, 0
	v_add_f32_e32 v7, v6, v5
	v_sub_f32_e32 v8, v5, v6
	v_lshlrev_b64 v[0:1], 3, v[28:29]
	v_add_co_u32 v0, s0, s1, v0
	v_add_co_ci_u32_e64 v1, s0, s4, v1, s0
	global_load_dwordx2 v[2:3], v[0:1], off
	ds_read_b32 v0, v4 offset:15604
	ds_read_b32 v1, v35 offset:4
	s_waitcnt lgkmcnt(0)
	v_add_f32_e32 v9, v0, v1
	v_sub_f32_e32 v0, v1, v0
	s_waitcnt vmcnt(0)
	v_fma_f32 v5, -v8, v3, v7
	v_fma_f32 v6, v9, v3, -v0
	v_fma_f32 v10, v8, v3, v7
	v_fma_f32 v1, v9, v3, v0
	v_fmac_f32_e32 v5, v2, v9
	v_fmac_f32_e32 v6, v8, v2
	v_fma_f32 v0, -v2, v9, v10
	v_fmac_f32_e32 v1, v8, v2
	v_mov_b32_e32 v2, v28
	v_mov_b32_e32 v3, v29
	ds_write_b64 v4, v[5:6] offset:15600
.LBB0_17:
	s_andn2_saveexec_b32 s0, s5
	s_cbranch_execz .LBB0_19
; %bb.18:
	v_mov_b32_e32 v7, 0
	ds_read_b64 v[2:3], v7 offset:7800
	s_waitcnt lgkmcnt(0)
	v_add_f32_e32 v5, v2, v2
	v_mul_f32_e32 v6, -2.0, v3
	v_mov_b32_e32 v2, 0
	v_mov_b32_e32 v3, 0
	ds_write_b64 v7, v[5:6] offset:7800
.LBB0_19:
	s_or_b32 exec_lo, exec_lo, s0
	v_lshlrev_b64 v[2:3], 3, v[2:3]
	ds_write_b64 v35, v[0:1]
	v_add_nc_u32_e32 v36, 0x2400, v35
	v_add_nc_u32_e32 v20, 0x1c00, v35
	v_add_co_u32 v2, s0, s1, v2
	v_add_co_ci_u32_e64 v3, s0, s4, v3, s0
	s_mov_b32 s1, exec_lo
	v_add_co_u32 v7, s0, 0x800, v2
	global_load_dwordx2 v[5:6], v[2:3], off offset:1560
	v_add_co_ci_u32_e64 v8, s0, 0, v3, s0
	v_add_co_u32 v9, s0, 0x1000, v2
	v_add_co_ci_u32_e64 v10, s0, 0, v3, s0
	s_clause 0x1
	global_load_dwordx2 v[7:8], v[7:8], off offset:1072
	global_load_dwordx2 v[9:10], v[9:10], off offset:584
	v_add_co_u32 v2, s0, 0x1800, v2
	v_add_co_ci_u32_e64 v3, s0, 0, v3, s0
	global_load_dwordx2 v[2:3], v[2:3], off offset:96
	ds_read_b64 v[0:1], v35 offset:1560
	ds_read_b64 v[11:12], v4 offset:14040
	s_waitcnt lgkmcnt(0)
	v_add_f32_e32 v13, v0, v11
	v_add_f32_e32 v14, v12, v1
	v_sub_f32_e32 v15, v0, v11
	v_sub_f32_e32 v0, v1, v12
	s_waitcnt vmcnt(3)
	v_fma_f32 v16, v15, v6, v13
	v_fma_f32 v1, v14, v6, v0
	v_fma_f32 v11, -v15, v6, v13
	v_fma_f32 v12, v14, v6, -v0
	v_fma_f32 v0, -v5, v14, v16
	v_fmac_f32_e32 v1, v15, v5
	v_fmac_f32_e32 v11, v5, v14
	v_fmac_f32_e32 v12, v15, v5
	ds_write_b64 v35, v[0:1] offset:1560
	ds_write_b64 v4, v[11:12] offset:14040
	ds_read_b64 v[0:1], v35 offset:3120
	ds_read_b64 v[5:6], v4 offset:12480
	s_waitcnt lgkmcnt(0)
	v_add_f32_e32 v11, v0, v5
	v_add_f32_e32 v12, v6, v1
	v_sub_f32_e32 v13, v0, v5
	v_sub_f32_e32 v0, v1, v6
	s_waitcnt vmcnt(2)
	v_fma_f32 v14, v13, v8, v11
	v_fma_f32 v1, v12, v8, v0
	v_fma_f32 v5, -v13, v8, v11
	v_fma_f32 v6, v12, v8, -v0
	v_fma_f32 v0, -v7, v12, v14
	v_fmac_f32_e32 v1, v13, v7
	v_fmac_f32_e32 v5, v7, v12
	v_fmac_f32_e32 v6, v13, v7
	ds_write_b64 v35, v[0:1] offset:3120
	ds_write_b64 v4, v[5:6] offset:12480
	;; [unrolled: 18-line block ×3, first 2 shown]
	ds_read_b64 v[0:1], v35 offset:6240
	ds_read_b64 v[5:6], v4 offset:9360
	s_waitcnt lgkmcnt(0)
	v_add_f32_e32 v7, v0, v5
	v_add_f32_e32 v8, v6, v1
	v_sub_f32_e32 v9, v0, v5
	v_sub_f32_e32 v0, v1, v6
	s_waitcnt vmcnt(0)
	v_fma_f32 v10, v9, v3, v7
	v_fma_f32 v1, v8, v3, v0
	v_fma_f32 v5, -v9, v3, v7
	v_fma_f32 v6, v8, v3, -v0
	v_add_nc_u32_e32 v7, 0x800, v35
	v_fma_f32 v0, -v2, v8, v10
	v_fmac_f32_e32 v1, v9, v2
	v_fmac_f32_e32 v5, v2, v8
	;; [unrolled: 1-line block ×3, first 2 shown]
	v_add_nc_u32_e32 v8, 0x2c00, v35
	ds_write_b64 v35, v[0:1] offset:6240
	ds_write_b64 v4, v[5:6] offset:9360
	s_waitcnt lgkmcnt(0)
	s_barrier
	buffer_gl0_inv
	s_barrier
	buffer_gl0_inv
	ds_read2_b64 v[0:3], v35 offset1:150
	ds_read_b64 v[33:34], v35 offset:14400
	ds_read2_b64 v[16:19], v7 offset0:44 offset1:194
	ds_read2_b64 v[4:7], v8 offset0:92 offset1:242
	v_add_nc_u32_e32 v8, 0x1000, v35
	ds_read2_b64 v[12:15], v8 offset0:88 offset1:238
	ds_read2_b64 v[8:11], v36 offset0:48 offset1:198
	;; [unrolled: 1-line block ×3, first 2 shown]
	s_waitcnt lgkmcnt(0)
	s_barrier
	buffer_gl0_inv
	v_sub_f32_e32 v60, v2, v33
	v_sub_f32_e32 v56, v3, v34
	v_add_f32_e32 v45, v33, v2
	v_add_f32_e32 v48, v34, v3
	v_sub_f32_e32 v59, v16, v6
	v_sub_f32_e32 v54, v17, v7
	v_mul_f32_e32 v69, 0xbf52af12, v56
	v_mul_f32_e32 v72, 0xbf52af12, v60
	;; [unrolled: 1-line block ×4, first 2 shown]
	v_add_f32_e32 v43, v6, v16
	v_add_f32_e32 v46, v7, v17
	v_sub_f32_e32 v58, v18, v4
	v_sub_f32_e32 v52, v19, v5
	v_mul_f32_e32 v68, 0xbf6f5d39, v54
	v_mul_f32_e32 v71, 0xbf6f5d39, v59
	;; [unrolled: 1-line block ×4, first 2 shown]
	v_fmamk_f32 v29, v45, 0x3f116cb1, v69
	v_fma_f32 v30, 0x3f116cb1, v48, -v72
	v_fmamk_f32 v93, v45, 0x3df6dbef, v83
	v_fma_f32 v95, 0x3df6dbef, v48, -v89
	v_add_f32_e32 v40, v4, v18
	v_add_f32_e32 v44, v5, v19
	v_sub_f32_e32 v57, v12, v10
	v_sub_f32_e32 v51, v13, v11
	v_mul_f32_e32 v66, 0xbe750f2a, v52
	v_mul_f32_e32 v70, 0xbe750f2a, v58
	v_mul_f32_e32 v84, 0x3f6f5d39, v52
	v_mul_f32_e32 v87, 0x3f6f5d39, v58
	v_fmamk_f32 v31, v43, 0xbeb58ec6, v68
	v_fma_f32 v32, 0xbeb58ec6, v46, -v71
	v_fmamk_f32 v94, v43, 0xbf788fa5, v82
	v_fma_f32 v96, 0xbf788fa5, v46, -v88
	v_add_f32_e32 v29, v0, v29
	v_add_f32_e32 v30, v1, v30
	v_add_f32_e32 v93, v0, v93
	v_add_f32_e32 v95, v1, v95
	v_add_f32_e32 v38, v10, v12
	v_add_f32_e32 v41, v11, v13
	v_sub_f32_e32 v55, v14, v8
	v_sub_f32_e32 v50, v15, v9
	v_mul_f32_e32 v65, 0x3f29c268, v51
	v_mul_f32_e32 v67, 0x3f29c268, v57
	v_mul_f32_e32 v81, 0x3eedf032, v51
	v_mul_f32_e32 v86, 0x3eedf032, v57
	v_fmamk_f32 v73, v40, 0xbf788fa5, v66
	v_fma_f32 v74, 0xbf788fa5, v44, -v70
	v_fmamk_f32 v97, v40, 0xbeb58ec6, v84
	v_fma_f32 v98, 0xbeb58ec6, v44, -v87
	v_add_f32_e32 v29, v31, v29
	v_add_f32_e32 v30, v32, v30
	v_add_f32_e32 v31, v94, v93
	v_add_f32_e32 v32, v96, v95
	;; [unrolled: 16-line block ×3, first 2 shown]
	v_add_f32_e32 v42, v22, v20
	v_add_f32_e32 v47, v23, v21
	v_mul_f32_e32 v61, 0x3eedf032, v49
	v_mul_f32_e32 v63, 0x3eedf032, v53
	;; [unrolled: 1-line block ×4, first 2 shown]
	v_fmamk_f32 v78, v37, 0x3df6dbef, v62
	v_fma_f32 v90, 0x3df6dbef, v39, -v64
	v_fmamk_f32 v101, v37, 0x3f116cb1, v79
	v_fma_f32 v93, 0x3f116cb1, v39, -v85
	v_add_f32_e32 v29, v75, v29
	v_add_f32_e32 v30, v76, v30
	v_add_f32_e32 v31, v99, v31
	v_add_f32_e32 v32, v100, v32
	v_fmamk_f32 v91, v42, 0x3f62ad3f, v61
	v_fma_f32 v92, 0x3f62ad3f, v47, -v63
	v_fmamk_f32 v73, v42, 0xbf3f9e67, v77
	v_fma_f32 v74, 0xbf3f9e67, v47, -v80
	v_add_f32_e32 v29, v78, v29
	v_add_f32_e32 v30, v90, v30
	;; [unrolled: 1-line block ×8, first 2 shown]
	v_cmpx_gt_u32_e32 0x96, v28
	s_cbranch_execz .LBB0_21
; %bb.20:
	v_mul_f32_e32 v78, 0xbe750f2a, v60
	v_mul_f32_e32 v76, 0x3eedf032, v59
	v_add_f32_e32 v3, v1, v3
	v_mul_f32_e32 v75, 0xbf29c268, v58
	v_add_f32_e32 v2, v0, v2
	v_fmamk_f32 v90, v48, 0xbf788fa5, v78
	v_mul_f32_e32 v91, 0xbe750f2a, v56
	v_fmamk_f32 v92, v46, 0x3f62ad3f, v76
	v_add_f32_e32 v3, v3, v17
	v_mul_f32_e32 v74, 0x3f52af12, v57
	v_add_f32_e32 v90, v1, v90
	v_mul_f32_e32 v93, 0x3eedf032, v54
	v_fmamk_f32 v17, v44, 0xbf3f9e67, v75
	v_add_f32_e32 v2, v2, v16
	v_fma_f32 v16, 0xbf788fa5, v45, -v91
	v_add_f32_e32 v90, v92, v90
	v_add_f32_e32 v3, v3, v19
	v_mul_f32_e32 v73, 0xbf6f5d39, v55
	v_mul_f32_e32 v94, 0xbf29c268, v52
	v_fmamk_f32 v92, v41, 0x3f116cb1, v74
	v_fma_f32 v95, 0x3f62ad3f, v43, -v93
	v_add_f32_e32 v17, v17, v90
	v_add_f32_e32 v16, v0, v16
	;; [unrolled: 1-line block ×4, first 2 shown]
	v_fmamk_f32 v90, v39, 0xbeb58ec6, v73
	v_fma_f32 v96, 0xbf3f9e67, v40, -v94
	v_add_f32_e32 v17, v92, v17
	v_add_f32_e32 v16, v95, v16
	v_mul_f32_e32 v18, 0x3f52af12, v51
	v_add_f32_e32 v2, v2, v12
	v_add_f32_e32 v3, v3, v15
	;; [unrolled: 1-line block ×4, first 2 shown]
	v_fma_f32 v16, 0x3f116cb1, v38, -v18
	v_add_f32_e32 v2, v2, v14
	v_mul_f32_e32 v90, 0xbf6f5d39, v50
	v_mul_f32_e32 v92, 0xbf29c268, v60
	v_add_f32_e32 v3, v3, v21
	v_add_f32_e32 v12, v16, v12
	;; [unrolled: 1-line block ×3, first 2 shown]
	v_fma_f32 v14, 0xbeb58ec6, v37, -v90
	v_fmamk_f32 v15, v48, 0xbf3f9e67, v92
	v_mul_f32_e32 v20, 0x3f7e222b, v59
	v_add_f32_e32 v16, v3, v23
	v_mul_f32_e32 v23, 0xbf29c268, v56
	v_mul_f32_e32 v19, 0x3f7e222b, v53
	;; [unrolled: 1-line block ×3, first 2 shown]
	v_add_f32_e32 v17, v2, v22
	v_add_f32_e32 v2, v1, v15
	v_fmamk_f32 v3, v46, 0x3df6dbef, v20
	v_mul_f32_e32 v22, 0xbf52af12, v58
	v_add_f32_e32 v12, v14, v12
	v_fma_f32 v14, 0xbf3f9e67, v45, -v23
	v_mul_f32_e32 v96, 0x3f7e222b, v54
	v_fmamk_f32 v15, v47, 0x3df6dbef, v19
	v_add_f32_e32 v2, v3, v2
	v_fmamk_f32 v3, v44, 0x3f116cb1, v22
	v_fma_f32 v97, 0x3df6dbef, v42, -v21
	v_add_f32_e32 v14, v0, v14
	v_fma_f32 v100, 0x3df6dbef, v43, -v96
	v_mul_f32_e32 v101, 0xbf52af12, v52
	v_add_f32_e32 v98, v3, v2
	v_add_f32_e32 v3, v15, v13
	;; [unrolled: 1-line block ×4, first 2 shown]
	v_fma_f32 v14, 0x3f116cb1, v40, -v101
	v_mul_f32_e32 v97, 0x3e750f2a, v51
	v_add_f32_e32 v9, v16, v9
	v_mul_f32_e32 v105, 0xbf6f5d39, v60
	v_mul_f32_e32 v95, 0x3e750f2a, v57
	v_add_f32_e32 v13, v14, v13
	v_fma_f32 v14, 0xbf788fa5, v38, -v97
	v_add_f32_e32 v100, v9, v11
	v_mul_f32_e32 v106, 0xbf6f5d39, v56
	v_fmamk_f32 v11, v48, 0xbeb58ec6, v105
	v_mul_f32_e32 v107, 0x3f29c268, v59
	v_fmamk_f32 v99, v41, 0xbf788fa5, v95
	v_add_f32_e32 v9, v14, v13
	v_fma_f32 v13, 0xbeb58ec6, v45, -v106
	v_mul_f32_e32 v108, 0x3f29c268, v54
	v_add_f32_e32 v11, v1, v11
	v_fmamk_f32 v14, v46, 0xbf3f9e67, v107
	v_mul_f32_e32 v109, 0x3eedf032, v58
	v_add_f32_e32 v12, v99, v98
	v_add_f32_e32 v8, v17, v8
	v_mul_f32_e32 v98, 0x3eedf032, v55
	v_mul_f32_e32 v99, 0x3eedf032, v50
	v_add_f32_e32 v13, v0, v13
	v_fma_f32 v15, 0xbf3f9e67, v43, -v108
	v_mul_f32_e32 v110, 0x3eedf032, v52
	v_add_f32_e32 v11, v14, v11
	v_fmamk_f32 v14, v44, 0x3f62ad3f, v109
	v_mul_f32_e32 v111, 0xbf7e222b, v57
	v_add_f32_e32 v102, v8, v10
	v_fmamk_f32 v8, v39, 0x3f62ad3f, v98
	v_fma_f32 v10, 0x3f62ad3f, v37, -v99
	v_mul_f32_e32 v103, 0xbf6f5d39, v53
	v_mul_f32_e32 v104, 0xbf6f5d39, v49
	v_add_f32_e32 v13, v15, v13
	v_fma_f32 v15, 0x3f62ad3f, v40, -v110
	v_mul_f32_e32 v112, 0xbf7e222b, v51
	v_add_f32_e32 v11, v14, v11
	v_fmamk_f32 v14, v41, 0x3df6dbef, v111
	v_mul_f32_e32 v113, 0x3e750f2a, v55
	v_add_f32_e32 v8, v8, v12
	v_add_f32_e32 v10, v10, v9
	v_fmamk_f32 v9, v47, 0xbeb58ec6, v103
	v_fma_f32 v12, 0xbeb58ec6, v42, -v104
	v_add_f32_e32 v13, v15, v13
	v_fma_f32 v15, 0x3df6dbef, v38, -v112
	v_mul_f32_e32 v114, 0x3e750f2a, v50
	v_add_f32_e32 v11, v14, v11
	v_fmamk_f32 v14, v39, 0xbf788fa5, v113
	v_mul_f32_e32 v115, 0x3f52af12, v53
	v_add_f32_e32 v13, v15, v13
	v_fma_f32 v15, 0xbf788fa5, v37, -v114
	v_add_f32_e32 v9, v9, v8
	v_add_f32_e32 v11, v14, v11
	v_fmamk_f32 v14, v47, 0x3f116cb1, v115
	v_add_f32_e32 v8, v12, v10
	v_mul_f32_e32 v12, 0x3df6dbef, v48
	v_add_f32_e32 v10, v15, v13
	v_mul_f32_e32 v13, 0x3df6dbef, v45
	;; [unrolled: 2-line block ×4, first 2 shown]
	v_sub_f32_e32 v13, v13, v83
	v_mul_f32_e32 v17, 0xbeb58ec6, v44
	v_add_f32_e32 v14, v88, v14
	v_add_f32_e32 v12, v1, v12
	v_mul_f32_e32 v116, 0x3f52af12, v49
	v_sub_f32_e32 v16, v16, v82
	v_add_f32_e32 v13, v0, v13
	v_mul_f32_e32 v82, 0xbeb58ec6, v40
	v_add_f32_e32 v12, v14, v12
	v_add_f32_e32 v14, v87, v17
	v_mul_f32_e32 v17, 0x3f62ad3f, v41
	v_fma_f32 v15, 0x3f116cb1, v42, -v116
	v_add_f32_e32 v13, v16, v13
	v_sub_f32_e32 v16, v82, v84
	v_mul_f32_e32 v82, 0x3f62ad3f, v38
	v_add_f32_e32 v12, v14, v12
	v_add_f32_e32 v14, v86, v17
	v_mul_f32_e32 v17, 0x3f116cb1, v39
	v_add_f32_e32 v13, v16, v13
	v_sub_f32_e32 v16, v82, v81
	v_add_f32_e32 v10, v15, v10
	v_add_f32_e32 v12, v14, v12
	v_mul_f32_e32 v14, 0x3f116cb1, v37
	v_add_f32_e32 v15, v85, v17
	v_add_f32_e32 v13, v16, v13
	v_mul_f32_e32 v17, 0x3f116cb1, v48
	v_mul_f32_e32 v16, 0xbf3f9e67, v47
	v_sub_f32_e32 v14, v14, v79
	v_add_f32_e32 v12, v15, v12
	v_mul_f32_e32 v15, 0xbeb58ec6, v46
	v_add_f32_e32 v17, v72, v17
	v_mul_f32_e32 v72, 0xbf788fa5, v44
	;; [unrolled: 2-line block ×4, first 2 shown]
	v_add_f32_e32 v17, v1, v17
	v_add_f32_e32 v16, v80, v16
	v_sub_f32_e32 v77, v13, v77
	v_mul_f32_e32 v13, 0xbeb58ec6, v43
	v_sub_f32_e32 v69, v71, v69
	v_add_f32_e32 v15, v15, v17
	v_add_f32_e32 v17, v70, v72
	v_mul_f32_e32 v70, 0xbf3f9e67, v41
	v_sub_f32_e32 v68, v13, v68
	v_add_f32_e32 v69, v0, v69
	v_mul_f32_e32 v71, 0xbf788fa5, v40
	v_add_f32_e32 v15, v17, v15
	v_add_f32_e32 v13, v16, v12
	;; [unrolled: 1-line block ×4, first 2 shown]
	v_sub_f32_e32 v66, v71, v66
	v_mul_f32_e32 v67, 0xbf3f9e67, v38
	v_add_f32_e32 v12, v77, v14
	v_add_f32_e32 v15, v16, v15
	v_mul_f32_e32 v14, 0x3df6dbef, v39
	v_add_f32_e32 v16, v66, v17
	v_sub_f32_e32 v17, v67, v65
	v_mul_f32_e32 v65, 0x3df6dbef, v37
	v_mul_f32_e32 v60, 0xbeedf032, v60
	v_add_f32_e32 v14, v64, v14
	v_mul_f32_e32 v64, 0x3f62ad3f, v47
	v_add_f32_e32 v16, v17, v16
	v_sub_f32_e32 v17, v65, v62
	v_fmamk_f32 v62, v48, 0x3f62ad3f, v60
	v_mul_f32_e32 v59, 0xbf52af12, v59
	v_mul_f32_e32 v56, 0xbeedf032, v56
	v_add_f32_e32 v14, v14, v15
	v_add_f32_e32 v16, v17, v16
	v_mul_f32_e32 v17, 0x3f62ad3f, v42
	v_add_f32_e32 v15, v63, v64
	v_add_f32_e32 v62, v1, v62
	v_fmamk_f32 v63, v46, 0x3f116cb1, v59
	v_mul_f32_e32 v58, 0xbf7e222b, v58
	v_sub_f32_e32 v17, v17, v61
	v_fma_f32 v61, 0x3f62ad3f, v45, -v56
	v_mul_f32_e32 v54, 0xbf52af12, v54
	v_add_f32_e32 v62, v63, v62
	v_fmamk_f32 v63, v44, 0x3df6dbef, v58
	v_mul_f32_e32 v57, 0xbf6f5d39, v57
	v_add_f32_e32 v61, v0, v61
	v_fma_f32 v64, 0x3f116cb1, v43, -v54
	v_mul_f32_e32 v52, 0xbf7e222b, v52
	v_add_f32_e32 v62, v63, v62
	v_fmamk_f32 v63, v41, 0xbeb58ec6, v57
	v_mul_f32_e32 v55, 0xbf29c268, v55
	v_add_f32_e32 v61, v64, v61
	v_fma_f32 v64, 0x3df6dbef, v40, -v52
	v_mul_f32_e32 v51, 0xbf6f5d39, v51
	v_add_f32_e32 v15, v15, v14
	v_add_f32_e32 v62, v63, v62
	v_fmamk_f32 v63, v39, 0xbf3f9e67, v55
	v_add_f32_e32 v61, v64, v61
	v_fma_f32 v64, 0xbeb58ec6, v38, -v51
	v_add_f32_e32 v14, v17, v16
	v_mul_f32_e32 v50, 0xbf29c268, v50
	v_fma_f32 v16, 0xbf788fa5, v48, -v78
	v_mul_f32_e32 v53, 0xbe750f2a, v53
	v_add_f32_e32 v17, v63, v62
	v_add_f32_e32 v61, v64, v61
	v_fma_f32 v62, 0xbf3f9e67, v37, -v50
	v_add_f32_e32 v16, v1, v16
	v_fma_f32 v63, 0x3f62ad3f, v46, -v76
	v_mul_f32_e32 v49, 0xbe750f2a, v49
	v_fmamk_f32 v64, v47, 0xbf788fa5, v53
	v_fmac_f32_e32 v91, 0xbf788fa5, v45
	v_add_f32_e32 v61, v62, v61
	v_add_f32_e32 v62, v63, v16
	v_fma_f32 v16, 0xbf788fa5, v42, -v49
	v_add_f32_e32 v17, v64, v17
	v_fma_f32 v63, 0xbf3f9e67, v44, -v75
	v_add_f32_e32 v64, v0, v91
	v_fmac_f32_e32 v93, 0x3f62ad3f, v43
	v_add_f32_e32 v16, v16, v61
	v_add_f32_e32 v5, v100, v5
	;; [unrolled: 1-line block ×3, first 2 shown]
	v_fma_f32 v62, 0x3f116cb1, v41, -v74
	v_add_f32_e32 v63, v93, v64
	v_fmac_f32_e32 v94, 0xbf3f9e67, v40
	v_add_f32_e32 v5, v5, v7
	v_add_f32_e32 v4, v102, v4
	;; [unrolled: 1-line block ×3, first 2 shown]
	v_fma_f32 v61, 0xbeb58ec6, v39, -v73
	v_add_f32_e32 v62, v94, v63
	v_fmac_f32_e32 v18, 0x3f116cb1, v38
	v_add_f32_e32 v4, v4, v6
	v_fmac_f32_e32 v90, 0xbeb58ec6, v37
	v_add_f32_e32 v6, v61, v7
	v_fma_f32 v7, 0x3df6dbef, v47, -v19
	v_add_f32_e32 v18, v18, v62
	v_fma_f32 v19, 0xbf3f9e67, v48, -v92
	v_fmac_f32_e32 v23, 0xbf3f9e67, v45
	v_fmac_f32_e32 v96, 0x3df6dbef, v43
	v_add_f32_e32 v7, v7, v6
	v_add_f32_e32 v6, v90, v18
	;; [unrolled: 1-line block ×3, first 2 shown]
	v_fma_f32 v19, 0x3df6dbef, v46, -v20
	v_add_f32_e32 v20, v0, v23
	v_fma_f32 v23, 0xbeb58ec6, v48, -v105
	v_fmac_f32_e32 v101, 0x3f116cb1, v40
	v_fmac_f32_e32 v97, 0xbf788fa5, v38
	v_add_f32_e32 v18, v19, v18
	v_fma_f32 v19, 0x3f116cb1, v44, -v22
	v_add_f32_e32 v20, v96, v20
	v_add_f32_e32 v22, v1, v23
	v_fma_f32 v23, 0xbf3f9e67, v46, -v107
	v_fmac_f32_e32 v99, 0x3f62ad3f, v37
	v_add_f32_e32 v18, v19, v18
	v_fma_f32 v19, 0xbf788fa5, v41, -v95
	v_add_f32_e32 v20, v101, v20
	v_add_f32_e32 v22, v23, v22
	v_fma_f32 v23, 0x3f62ad3f, v44, -v109
	;; [unrolled: 6-line block ×4, first 2 shown]
	v_fmac_f32_e32 v106, 0xbeb58ec6, v45
	v_add_f32_e32 v6, v21, v6
	v_fma_f32 v21, 0x3f62ad3f, v48, -v60
	v_fmac_f32_e32 v56, 0x3f62ad3f, v45
	v_add_f32_e32 v19, v19, v18
	v_add_f32_e32 v18, v104, v20
	;; [unrolled: 1-line block ×4, first 2 shown]
	v_fmac_f32_e32 v108, 0xbf3f9e67, v43
	v_add_f32_e32 v1, v1, v21
	v_fma_f32 v21, 0x3f116cb1, v46, -v59
	v_add_f32_e32 v0, v0, v56
	v_fmac_f32_e32 v54, 0x3f116cb1, v43
	v_add_f32_e32 v23, v108, v23
	v_fmac_f32_e32 v110, 0x3f62ad3f, v40
	v_add_f32_e32 v1, v21, v1
	v_fma_f32 v21, 0x3df6dbef, v44, -v58
	v_add_f32_e32 v0, v54, v0
	v_fmac_f32_e32 v52, 0x3df6dbef, v40
	v_add_f32_e32 v23, v110, v23
	;; [unrolled: 6-line block ×3, first 2 shown]
	v_fmac_f32_e32 v114, 0xbf788fa5, v37
	v_add_f32_e32 v1, v21, v1
	v_fma_f32 v21, 0xbf3f9e67, v39, -v55
	v_add_f32_e32 v0, v51, v0
	v_fmac_f32_e32 v50, 0xbf3f9e67, v37
	v_fma_f32 v22, 0x3f116cb1, v47, -v115
	v_add_f32_e32 v23, v114, v23
	v_fmac_f32_e32 v116, 0x3f116cb1, v42
	v_add_f32_e32 v5, v5, v34
	v_add_f32_e32 v4, v4, v33
	;; [unrolled: 1-line block ×3, first 2 shown]
	v_fma_f32 v33, 0xbf788fa5, v47, -v53
	v_add_f32_e32 v34, v50, v0
	v_fmac_f32_e32 v49, 0xbf788fa5, v42
	v_mad_u32_u24 v37, 0x60, v28, v35
	v_add_f32_e32 v1, v22, v20
	v_add_f32_e32 v0, v116, v23
	;; [unrolled: 1-line block ×4, first 2 shown]
	ds_write2_b64 v37, v[4:5], v[16:17] offset1:1
	ds_write2_b64 v37, v[14:15], v[12:13] offset0:2 offset1:3
	ds_write2_b64 v37, v[10:11], v[8:9] offset0:4 offset1:5
	;; [unrolled: 1-line block ×5, first 2 shown]
	ds_write_b64 v37, v[20:21] offset:96
.LBB0_21:
	s_or_b32 exec_lo, exec_lo, s1
	v_and_b32_e32 v16, 0xff, v28
	v_add_nc_u32_e32 v22, 0xc3, v28
	v_mov_b32_e32 v1, 0x4ec5
	v_mov_b32_e32 v4, 5
	s_waitcnt lgkmcnt(0)
	v_mul_lo_u16 v0, 0x4f, v16
	s_barrier
	buffer_gl0_inv
	v_mul_lo_u16 v34, 0xfd, v16
	v_add_nc_u32_e32 v54, 0x1800, v35
	v_lshrrev_b16 v20, 10, v0
	v_mul_u32_u24_sdwa v0, v22, v1 dst_sel:DWORD dst_unused:UNUSED_PAD src0_sel:WORD_0 src1_sel:DWORD
	v_add_nc_u32_e32 v55, 0x3000, v35
	v_add_nc_u32_e32 v53, 0xc00, v35
	v_lshrrev_b16 v34, 14, v34
	v_mul_lo_u16 v1, v20, 13
	v_lshrrev_b32_e32 v21, 18, v0
	v_mov_b32_e32 v57, 0x208
	v_mov_b32_e32 v58, 3
	v_mul_lo_u16 v56, 0x41, v34
	v_sub_nc_u16 v23, v28, v1
	v_mul_lo_u16 v0, v21, 13
	v_mov_b32_e32 v59, 9
	v_mul_u32_u24_sdwa v20, v20, v57 dst_sel:DWORD dst_unused:UNUSED_PAD src0_sel:WORD_0 src1_sel:DWORD
	v_sub_nc_u16 v56, v28, v56
	v_lshlrev_b32_sdwa v5, v4, v23 dst_sel:DWORD dst_unused:UNUSED_PAD src0_sel:DWORD src1_sel:BYTE_0
	v_sub_nc_u16 v33, v22, v0
	v_mul_u32_u24_e32 v21, 0x208, v21
	v_lshlrev_b32_sdwa v23, v58, v23 dst_sel:DWORD dst_unused:UNUSED_PAD src0_sel:DWORD src1_sel:BYTE_0
	v_mul_u32_u24_sdwa v57, v56, v59 dst_sel:DWORD dst_unused:UNUSED_PAD src0_sel:BYTE_0 src1_sel:DWORD
	global_load_dwordx4 v[0:3], v5, s[12:13]
	v_lshlrev_b32_sdwa v12, v4, v33 dst_sel:DWORD dst_unused:UNUSED_PAD src0_sel:DWORD src1_sel:WORD_0
	v_lshlrev_b32_sdwa v33, v58, v33 dst_sel:DWORD dst_unused:UNUSED_PAD src0_sel:DWORD src1_sel:WORD_0
	v_add3_u32 v20, 0, v20, v23
	s_clause 0x2
	global_load_dwordx4 v[4:7], v5, s[12:13] offset:16
	global_load_dwordx4 v[8:11], v12, s[12:13]
	global_load_dwordx4 v[12:15], v12, s[12:13] offset:16
	ds_read2_b64 v[16:19], v35 offset1:195
	ds_read2_b64 v[37:40], v36 offset0:18 offset1:213
	ds_read2_b64 v[41:44], v53 offset0:6 offset1:201
	;; [unrolled: 1-line block ×4, first 2 shown]
	v_add3_u32 v21, 0, v21, v33
	v_lshlrev_b32_e32 v23, 3, v57
	s_waitcnt vmcnt(0) lgkmcnt(0)
	s_barrier
	buffer_gl0_inv
	v_cmp_gt_u32_e64 s0, 0x41, v28
	v_mul_f32_e32 v33, v1, v42
	v_mul_f32_e32 v1, v1, v41
	;; [unrolled: 1-line block ×16, first 2 shown]
	v_fma_f32 v15, v0, v41, -v33
	v_fmac_f32_e32 v1, v0, v42
	v_fma_f32 v0, v2, v45, -v57
	v_fmac_f32_e32 v3, v2, v46
	;; [unrolled: 2-line block ×8, first 2 shown]
	v_add_f32_e32 v5, v16, v15
	v_add_f32_e32 v6, v0, v33
	v_sub_f32_e32 v7, v15, v0
	v_sub_f32_e32 v8, v37, v33
	v_add_f32_e32 v42, v17, v1
	v_add_f32_e32 v43, v3, v60
	;; [unrolled: 1-line block ×10, first 2 shown]
	v_sub_f32_e32 v39, v1, v61
	v_sub_f32_e32 v14, v0, v15
	;; [unrolled: 1-line block ×7, first 2 shown]
	v_add_f32_e32 v75, v5, v0
	v_fma_f32 v0, -0.5, v6, v16
	v_add_f32_e32 v76, v7, v8
	v_add_f32_e32 v7, v42, v3
	v_fma_f32 v1, -0.5, v43, v17
	v_sub_f32_e32 v40, v3, v60
	v_sub_f32_e32 v49, v60, v61
	;; [unrolled: 1-line block ×9, first 2 shown]
	v_fma_f32 v2, -0.5, v12, v16
	v_fma_f32 v3, -0.5, v47, v17
	v_sub_f32_e32 v57, v11, v13
	v_sub_f32_e32 v70, v4, v10
	v_add_f32_e32 v12, v50, v4
	v_fma_f32 v4, -0.5, v51, v18
	v_add_f32_e32 v11, v67, v11
	v_fma_f32 v5, -0.5, v68, v19
	v_fma_f32 v18, -0.5, v63, v18
	v_fmac_f32_e32 v19, -0.5, v73
	v_sub_f32_e32 v41, v33, v37
	v_add_f32_e32 v42, v15, v46
	v_fmamk_f32 v6, v39, 0x3f737871, v0
	v_add_f32_e32 v15, v7, v60
	v_fmamk_f32 v7, v44, 0xbf737871, v1
	v_add_f32_e32 v43, v48, v49
	v_add_f32_e32 v49, v9, v74
	v_fmamk_f32 v8, v40, 0xbf737871, v2
	v_fmac_f32_e32 v2, 0x3f737871, v40
	v_fmamk_f32 v9, v45, 0x3f737871, v3
	v_fmac_f32_e32 v3, 0xbf737871, v45
	v_fmac_f32_e32 v0, 0xbf737871, v39
	;; [unrolled: 1-line block ×3, first 2 shown]
	v_sub_f32_e32 v62, v38, v10
	v_sub_f32_e32 v66, v10, v38
	;; [unrolled: 1-line block ×3, first 2 shown]
	v_add_f32_e32 v16, v12, v10
	v_fmamk_f32 v10, v52, 0x3f737871, v4
	v_add_f32_e32 v17, v11, v13
	v_fmamk_f32 v11, v69, 0xbf737871, v5
	v_fmac_f32_e32 v4, 0xbf737871, v52
	v_fmamk_f32 v12, v57, 0xbf737871, v18
	v_fmac_f32_e32 v18, 0x3f737871, v57
	v_fmac_f32_e32 v5, 0x3f737871, v69
	v_fmamk_f32 v13, v70, 0x3f737871, v19
	v_fmac_f32_e32 v19, 0xbf737871, v70
	v_add_f32_e32 v41, v14, v41
	v_add_f32_e32 v14, v75, v33
	v_fmac_f32_e32 v6, 0x3f167918, v40
	v_fmac_f32_e32 v7, 0xbf167918, v45
	;; [unrolled: 1-line block ×8, first 2 shown]
	v_add_f32_e32 v46, v59, v62
	v_add_f32_e32 v48, v71, v72
	v_fmac_f32_e32 v10, 0x3f167918, v57
	v_fmac_f32_e32 v11, 0xbf167918, v70
	v_add_f32_e32 v47, v64, v66
	v_fmac_f32_e32 v4, 0xbf167918, v57
	v_fmac_f32_e32 v12, 0x3f167918, v52
	;; [unrolled: 1-line block ×6, first 2 shown]
	v_add_f32_e32 v14, v14, v37
	v_add_f32_e32 v15, v15, v61
	v_fmac_f32_e32 v6, 0x3e9e377a, v76
	v_fmac_f32_e32 v7, 0x3e9e377a, v42
	;; [unrolled: 1-line block ×8, first 2 shown]
	v_add_f32_e32 v16, v16, v38
	v_add_f32_e32 v17, v17, v65
	v_fmac_f32_e32 v10, 0x3e9e377a, v46
	v_fmac_f32_e32 v11, 0x3e9e377a, v48
	;; [unrolled: 1-line block ×8, first 2 shown]
	ds_write2_b64 v20, v[14:15], v[6:7] offset1:13
	ds_write2_b64 v20, v[8:9], v[2:3] offset0:26 offset1:39
	ds_write_b64 v20, v[0:1] offset:416
	ds_write2_b64 v21, v[16:17], v[10:11] offset1:13
	ds_write2_b64 v21, v[12:13], v[18:19] offset0:26 offset1:39
	ds_write_b64 v21, v[4:5] offset:416
	s_waitcnt lgkmcnt(0)
	s_barrier
	buffer_gl0_inv
	s_clause 0x4
	global_load_dwordx4 v[0:3], v23, s[12:13] offset:416
	global_load_dwordx4 v[4:7], v23, s[12:13] offset:432
	;; [unrolled: 1-line block ×4, first 2 shown]
	global_load_dwordx2 v[20:21], v23, s[12:13] offset:480
	ds_read2_b64 v[16:19], v35 offset1:195
	ds_read2_b64 v[37:40], v53 offset0:6 offset1:201
	ds_read2_b64 v[41:44], v54 offset0:12 offset1:207
	;; [unrolled: 1-line block ×4, first 2 shown]
	v_lshlrev_b32_sdwa v33, v58, v56 dst_sel:DWORD dst_unused:UNUSED_PAD src0_sel:DWORD src1_sel:BYTE_0
	v_mov_b32_e32 v23, 0x1450
	s_waitcnt vmcnt(0) lgkmcnt(0)
	s_barrier
	buffer_gl0_inv
	v_mul_u32_u24_sdwa v23, v34, v23 dst_sel:DWORD dst_unused:UNUSED_PAD src0_sel:WORD_0 src1_sel:DWORD
	v_add3_u32 v34, 0, v23, v33
	v_add_nc_u32_e32 v23, 0x1400, v35
	v_add_nc_u32_e32 v33, 0x2800, v35
	;; [unrolled: 1-line block ×4, first 2 shown]
	v_mul_f32_e32 v54, v1, v19
	v_mul_f32_e32 v55, v1, v18
	;; [unrolled: 1-line block ×18, first 2 shown]
	v_fma_f32 v18, v0, v18, -v54
	v_fmac_f32_e32 v55, v0, v19
	v_fma_f32 v0, v2, v37, -v1
	v_fmac_f32_e32 v3, v2, v38
	;; [unrolled: 2-line block ×9, first 2 shown]
	v_add_f32_e32 v14, v16, v0
	v_add_f32_e32 v19, v2, v6
	v_sub_f32_e32 v38, v0, v2
	v_sub_f32_e32 v39, v10, v6
	v_add_f32_e32 v40, v0, v10
	v_sub_f32_e32 v41, v2, v0
	v_sub_f32_e32 v42, v6, v10
	v_add_f32_e32 v43, v17, v3
	v_add_f32_e32 v44, v7, v11
	;; [unrolled: 1-line block ×9, first 2 shown]
	v_sub_f32_e32 v20, v3, v15
	v_sub_f32_e32 v37, v7, v11
	;; [unrolled: 1-line block ×9, first 2 shown]
	v_add_f32_e32 v2, v14, v2
	v_fma_f32 v19, -0.5, v19, v16
	v_add_f32_e32 v14, v38, v39
	v_fma_f32 v38, -0.5, v40, v16
	v_add_f32_e32 v16, v41, v42
	v_add_f32_e32 v7, v43, v7
	v_fma_f32 v39, -0.5, v44, v17
	v_fma_f32 v41, -0.5, v48, v17
	;; [unrolled: 1-line block ×4, first 2 shown]
	v_sub_f32_e32 v54, v9, v13
	v_sub_f32_e32 v63, v4, v8
	;; [unrolled: 1-line block ×4, first 2 shown]
	v_add_f32_e32 v4, v50, v4
	v_fmac_f32_e32 v18, -0.5, v58
	v_add_f32_e32 v9, v61, v9
	v_fmac_f32_e32 v55, -0.5, v66
	v_sub_f32_e32 v47, v15, v11
	v_sub_f32_e32 v49, v11, v15
	;; [unrolled: 1-line block ×4, first 2 shown]
	v_add_f32_e32 v2, v2, v6
	v_add_f32_e32 v6, v7, v11
	v_fmamk_f32 v7, v52, 0x3f737871, v17
	v_fmamk_f32 v11, v1, 0xbf737871, v44
	v_sub_f32_e32 v60, v8, v12
	v_sub_f32_e32 v67, v13, v21
	v_add_f32_e32 v4, v4, v8
	v_fmamk_f32 v8, v54, 0xbf737871, v18
	v_fmac_f32_e32 v18, 0x3f737871, v54
	v_add_f32_e32 v9, v9, v13
	v_fmamk_f32 v13, v63, 0x3f737871, v55
	v_fmac_f32_e32 v55, 0xbf737871, v63
	v_fmac_f32_e32 v17, 0xbf737871, v52
	;; [unrolled: 1-line block ×3, first 2 shown]
	v_sub_f32_e32 v0, v0, v10
	v_add_f32_e32 v40, v46, v47
	v_add_f32_e32 v42, v56, v57
	v_add_f32_e32 v46, v64, v65
	v_fmac_f32_e32 v7, 0x3f167918, v54
	v_fmac_f32_e32 v11, 0xbf167918, v63
	v_add_f32_e32 v43, v59, v60
	v_add_f32_e32 v5, v5, v67
	v_fmamk_f32 v50, v45, 0x3f737871, v41
	v_fmac_f32_e32 v41, 0xbf737871, v45
	v_fmac_f32_e32 v8, 0x3f167918, v52
	;; [unrolled: 1-line block ×7, first 2 shown]
	v_add_f32_e32 v3, v3, v49
	v_fmamk_f32 v47, v20, 0x3f737871, v19
	v_fmamk_f32 v48, v37, 0xbf737871, v38
	v_fmac_f32_e32 v38, 0x3f737871, v37
	v_fmamk_f32 v49, v0, 0xbf737871, v39
	v_fmac_f32_e32 v7, 0x3e9e377a, v42
	v_fmac_f32_e32 v11, 0x3e9e377a, v46
	v_add_f32_e32 v2, v2, v10
	v_add_f32_e32 v6, v6, v15
	v_fmac_f32_e32 v50, 0xbf167918, v0
	v_fmac_f32_e32 v41, 0x3f167918, v0
	v_add_f32_e32 v4, v4, v12
	v_add_f32_e32 v9, v9, v21
	v_fmac_f32_e32 v8, 0x3e9e377a, v43
	v_fmac_f32_e32 v18, 0x3e9e377a, v43
	;; [unrolled: 1-line block ×12, first 2 shown]
	v_mul_f32_e32 v12, 0x3f167918, v11
	v_mul_f32_e32 v20, 0xbf167918, v7
	v_fmac_f32_e32 v50, 0x3e9e377a, v3
	v_fmac_f32_e32 v41, 0x3e9e377a, v3
	v_add_f32_e32 v0, v2, v4
	v_add_f32_e32 v1, v6, v9
	v_sub_f32_e32 v2, v2, v4
	v_sub_f32_e32 v3, v6, v9
	v_mul_f32_e32 v15, 0x3f737871, v13
	v_mul_f32_e32 v4, 0x3e9e377a, v18
	;; [unrolled: 1-line block ×4, first 2 shown]
	v_fmac_f32_e32 v19, 0xbf167918, v37
	v_fmac_f32_e32 v39, 0x3f167918, v45
	v_mul_f32_e32 v5, 0x3f4f1bbd, v17
	v_mul_f32_e32 v9, 0x3f4f1bbd, v44
	v_fmac_f32_e32 v47, 0x3e9e377a, v14
	v_fmac_f32_e32 v49, 0x3e9e377a, v40
	;; [unrolled: 1-line block ×7, first 2 shown]
	v_fma_f32 v37, 0x3f737871, v55, -v4
	v_fmac_f32_e32 v21, 0x3e9e377a, v13
	v_fma_f32 v13, 0xbf737871, v18, -v6
	v_fmac_f32_e32 v19, 0x3e9e377a, v14
	v_fmac_f32_e32 v39, 0x3e9e377a, v40
	v_fma_f32 v40, 0x3f167918, v44, -v5
	v_fma_f32 v42, 0xbf167918, v17, -v9
	v_add_f32_e32 v4, v47, v12
	v_add_f32_e32 v5, v49, v20
	;; [unrolled: 1-line block ×8, first 2 shown]
	v_sub_f32_e32 v14, v47, v12
	v_sub_f32_e32 v16, v48, v15
	;; [unrolled: 1-line block ×8, first 2 shown]
	ds_write2_b64 v34, v[0:1], v[4:5] offset1:65
	ds_write2_b64 v34, v[6:7], v[8:9] offset0:130 offset1:195
	ds_write2_b64 v36, v[10:11], v[2:3] offset0:4 offset1:69
	;; [unrolled: 1-line block ×4, first 2 shown]
	s_waitcnt lgkmcnt(0)
	s_barrier
	buffer_gl0_inv
	ds_read2_b64 v[0:3], v35 offset1:195
	ds_read2_b64 v[8:11], v23 offset0:10 offset1:205
	ds_read2_b64 v[4:7], v33 offset0:20 offset1:215
	ds_read_b64 v[14:15], v35 offset:3120
	ds_read_b64 v[20:21], v35 offset:8320
	;; [unrolled: 1-line block ×3, first 2 shown]
	s_and_saveexec_b32 s1, s0
	s_cbranch_execz .LBB0_23
; %bb.22:
	ds_read_b64 v[12:13], v35 offset:4680
	ds_read_b64 v[31:32], v35 offset:9880
	;; [unrolled: 1-line block ×3, first 2 shown]
.LBB0_23:
	s_or_b32 exec_lo, exec_lo, s1
	v_mov_b32_e32 v17, 0
	v_lshlrev_b32_e32 v16, 1, v28
	v_lshlrev_b32_e32 v36, 1, v22
	v_mov_b32_e32 v37, v17
	v_lshlrev_b64 v[38:39], 3, v[16:17]
	v_add_nc_u32_e32 v16, 0x30c, v16
	v_lshlrev_b64 v[36:37], 3, v[36:37]
	v_add_co_u32 v22, s1, s12, v38
	v_add_co_ci_u32_e64 v34, s1, s13, v39, s1
	v_lshlrev_b64 v[40:41], 3, v[16:17]
	v_add_co_u32 v38, s1, 0x1000, v22
	v_add_co_ci_u32_e64 v39, s1, 0, v34, s1
	v_add_co_u32 v16, s1, s12, v36
	v_add_co_ci_u32_e64 v22, s1, s13, v37, s1
	;; [unrolled: 2-line block ×4, first 2 shown]
	v_add_co_u32 v44, s1, 0x1000, v34
	global_load_dwordx4 v[36:39], v[38:39], off offset:1000
	v_add_co_ci_u32_e64 v45, s1, 0, v42, s1
	s_clause 0x1
	global_load_dwordx4 v[40:43], v[40:41], off offset:1000
	global_load_dwordx4 v[44:47], v[44:45], off offset:1000
	s_waitcnt vmcnt(0) lgkmcnt(0)
	s_barrier
	buffer_gl0_inv
	v_mul_f32_e32 v16, v37, v9
	v_mul_f32_e32 v22, v37, v8
	;; [unrolled: 1-line block ×4, first 2 shown]
	v_fma_f32 v8, v36, v8, -v16
	v_fmac_f32_e32 v22, v36, v9
	v_fma_f32 v4, v38, v4, -v34
	v_fmac_f32_e32 v37, v38, v5
	v_mul_f32_e32 v5, v41, v11
	v_mul_f32_e32 v9, v41, v10
	;; [unrolled: 1-line block ×8, first 2 shown]
	v_fma_f32 v10, v40, v10, -v5
	v_fmac_f32_e32 v9, v40, v11
	v_fma_f32 v11, v42, v6, -v16
	v_fmac_f32_e32 v34, v42, v7
	v_fma_f32 v6, v44, v20, -v36
	v_add_f32_e32 v20, v22, v37
	v_fmac_f32_e32 v38, v44, v21
	v_fma_f32 v16, v46, v18, -v39
	v_fmac_f32_e32 v41, v46, v19
	v_add_f32_e32 v5, v0, v8
	v_add_f32_e32 v19, v1, v22
	;; [unrolled: 1-line block ×3, first 2 shown]
	v_fma_f32 v1, -0.5, v20, v1
	v_add_f32_e32 v20, v10, v11
	v_add_f32_e32 v36, v9, v34
	;; [unrolled: 1-line block ×3, first 2 shown]
	v_sub_f32_e32 v40, v38, v41
	v_add_f32_e32 v42, v15, v38
	v_add_f32_e32 v38, v38, v41
	v_sub_f32_e32 v18, v22, v37
	v_sub_f32_e32 v8, v8, v4
	v_add_f32_e32 v4, v5, v4
	v_add_f32_e32 v5, v19, v37
	;; [unrolled: 1-line block ×4, first 2 shown]
	v_sub_f32_e32 v37, v10, v11
	v_add_f32_e32 v10, v14, v6
	v_fma_f32 v0, -0.5, v7, v0
	v_sub_f32_e32 v21, v9, v34
	v_fma_f32 v2, -0.5, v20, v2
	v_fmac_f32_e32 v3, -0.5, v36
	v_sub_f32_e32 v43, v6, v16
	v_fma_f32 v14, -0.5, v39, v14
	v_fmac_f32_e32 v15, -0.5, v38
	v_fmamk_f32 v7, v8, 0xbf5db3d7, v1
	v_fmac_f32_e32 v1, 0x3f5db3d7, v8
	v_add_f32_e32 v8, v19, v11
	v_add_f32_e32 v9, v22, v34
	;; [unrolled: 1-line block ×4, first 2 shown]
	v_fmamk_f32 v6, v18, 0x3f5db3d7, v0
	v_fmac_f32_e32 v0, 0xbf5db3d7, v18
	v_fmamk_f32 v18, v21, 0x3f5db3d7, v2
	v_fmamk_f32 v19, v37, 0xbf5db3d7, v3
	v_fmac_f32_e32 v2, 0xbf5db3d7, v21
	v_fmac_f32_e32 v3, 0x3f5db3d7, v37
	v_fmamk_f32 v20, v40, 0x3f5db3d7, v14
	v_fmamk_f32 v21, v43, 0xbf5db3d7, v15
	v_fmac_f32_e32 v14, 0xbf5db3d7, v40
	v_fmac_f32_e32 v15, 0x3f5db3d7, v43
	ds_write2_b64 v35, v[4:5], v[8:9] offset1:195
	ds_write_b64 v35, v[10:11] offset:3120
	ds_write2_b64 v23, v[6:7], v[18:19] offset0:10 offset1:205
	ds_write2_b64 v33, v[0:1], v[2:3] offset0:20 offset1:215
	ds_write_b64 v35, v[20:21] offset:8320
	ds_write_b64 v35, v[14:15] offset:13520
	s_and_saveexec_b32 s1, s0
	s_cbranch_execz .LBB0_25
; %bb.24:
	v_mov_b32_e32 v0, 0x249
	v_cndmask_b32_e64 v0, 0xffffffbf, v0, s0
	v_add_lshl_u32 v16, v28, v0, 1
	v_lshlrev_b64 v[0:1], 3, v[16:17]
	v_add_co_u32 v0, s0, s12, v0
	v_add_co_ci_u32_e64 v1, s0, s13, v1, s0
	v_add_co_u32 v0, s0, 0x1000, v0
	v_add_co_ci_u32_e64 v1, s0, 0, v1, s0
	global_load_dwordx4 v[0:3], v[0:1], off offset:1000
	s_waitcnt vmcnt(0)
	v_mul_f32_e32 v4, v32, v1
	v_mul_f32_e32 v5, v31, v1
	;; [unrolled: 1-line block ×4, first 2 shown]
	v_fma_f32 v3, v31, v0, -v4
	v_fmac_f32_e32 v5, v32, v0
	v_fmac_f32_e32 v6, v30, v2
	v_fma_f32 v2, v29, v2, -v1
	v_add_f32_e32 v9, v12, v3
	v_add_f32_e32 v8, v13, v5
	;; [unrolled: 1-line block ×4, first 2 shown]
	v_sub_f32_e32 v4, v3, v2
	v_sub_f32_e32 v10, v5, v6
	v_add_f32_e32 v3, v8, v6
	v_fma_f32 v1, -0.5, v0, v13
	v_fma_f32 v0, -0.5, v7, v12
	v_add_f32_e32 v2, v9, v2
	v_fmamk_f32 v5, v4, 0x3f5db3d7, v1
	v_fmac_f32_e32 v1, 0xbf5db3d7, v4
	v_fmamk_f32 v4, v10, 0xbf5db3d7, v0
	v_fmac_f32_e32 v0, 0x3f5db3d7, v10
	ds_write_b64 v35, v[2:3] offset:4680
	ds_write_b64 v35, v[0:1] offset:9880
	;; [unrolled: 1-line block ×3, first 2 shown]
.LBB0_25:
	s_or_b32 exec_lo, exec_lo, s1
	s_waitcnt lgkmcnt(0)
	s_barrier
	buffer_gl0_inv
	s_and_saveexec_b32 s0, vcc_lo
	s_cbranch_execz .LBB0_27
; %bb.26:
	v_mul_lo_u32 v2, s3, v26
	v_mul_lo_u32 v3, s2, v27
	v_mad_u64_u32 v[0:1], null, s2, v26, 0
	v_lshl_add_u32 v20, v28, 3, 0
	v_mov_b32_e32 v29, 0
	v_lshlrev_b64 v[4:5], 3, v[24:25]
	v_add_nc_u32_e32 v8, 0xc3, v28
	v_add_nc_u32_e32 v10, 0x186, v28
	;; [unrolled: 1-line block ×3, first 2 shown]
	v_add3_u32 v1, v1, v3, v2
	v_mov_b32_e32 v13, v29
	v_add_nc_u32_e32 v16, 0x30c, v28
	v_mov_b32_e32 v17, v29
	v_add_nc_u32_e32 v18, 0x3cf, v28
	v_lshlrev_b64 v[6:7], 3, v[0:1]
	ds_read2_b64 v[0:3], v20 offset1:195
	v_lshlrev_b64 v[12:13], 3, v[12:13]
	v_lshlrev_b64 v[16:17], 3, v[16:17]
	v_mov_b32_e32 v19, v29
	v_add_co_u32 v9, vcc_lo, s10, v6
	v_add_co_ci_u32_e32 v11, vcc_lo, s11, v7, vcc_lo
	v_lshlrev_b64 v[6:7], 3, v[28:29]
	v_add_co_u32 v21, vcc_lo, v9, v4
	v_add_co_ci_u32_e32 v22, vcc_lo, v11, v5, vcc_lo
	v_mov_b32_e32 v9, v29
	v_add_co_u32 v4, vcc_lo, v21, v6
	v_add_co_ci_u32_e32 v5, vcc_lo, v22, v7, vcc_lo
	v_lshlrev_b64 v[6:7], 3, v[8:9]
	v_add_nc_u32_e32 v8, 0xc00, v20
	v_mov_b32_e32 v11, v29
	v_add_nc_u32_e32 v9, 0x1800, v20
	s_waitcnt lgkmcnt(0)
	global_store_dwordx2 v[4:5], v[0:1], off
	v_add_co_u32 v0, vcc_lo, v21, v6
	v_add_co_ci_u32_e32 v1, vcc_lo, v22, v7, vcc_lo
	ds_read2_b64 v[4:7], v8 offset0:6 offset1:201
	v_lshlrev_b64 v[14:15], 3, v[10:11]
	ds_read2_b64 v[8:11], v9 offset0:12 offset1:207
	v_add_co_u32 v14, vcc_lo, v21, v14
	v_add_co_ci_u32_e32 v15, vcc_lo, v22, v15, vcc_lo
	v_add_co_u32 v12, vcc_lo, v21, v12
	v_add_co_ci_u32_e32 v13, vcc_lo, v22, v13, vcc_lo
	;; [unrolled: 2-line block ×3, first 2 shown]
	global_store_dwordx2 v[0:1], v[2:3], off
	s_waitcnt lgkmcnt(1)
	global_store_dwordx2 v[14:15], v[4:5], off
	global_store_dwordx2 v[12:13], v[6:7], off
	s_waitcnt lgkmcnt(0)
	global_store_dwordx2 v[16:17], v[8:9], off
	v_lshlrev_b64 v[0:1], 3, v[18:19]
	v_add_nc_u32_e32 v2, 0x2400, v20
	v_add_nc_u32_e32 v4, 0x492, v28
	v_mov_b32_e32 v5, v29
	v_add_nc_u32_e32 v6, 0x555, v28
	v_mov_b32_e32 v7, v29
	v_add_nc_u32_e32 v18, 0x3000, v20
	v_add_co_u32 v8, vcc_lo, v21, v0
	v_add_co_ci_u32_e32 v9, vcc_lo, v22, v1, vcc_lo
	ds_read2_b64 v[0:3], v2 offset0:18 offset1:213
	v_lshlrev_b64 v[12:13], 3, v[4:5]
	v_lshlrev_b64 v[14:15], 3, v[6:7]
	v_add_nc_u32_e32 v16, 0x618, v28
	v_mov_b32_e32 v17, v29
	ds_read2_b64 v[4:7], v18 offset0:24 offset1:219
	v_add_nc_u32_e32 v28, 0x6db, v28
	v_add_co_u32 v12, vcc_lo, v21, v12
	v_lshlrev_b64 v[16:17], 3, v[16:17]
	v_add_co_ci_u32_e32 v13, vcc_lo, v22, v13, vcc_lo
	v_add_co_u32 v14, vcc_lo, v21, v14
	v_lshlrev_b64 v[18:19], 3, v[28:29]
	v_add_co_ci_u32_e32 v15, vcc_lo, v22, v15, vcc_lo
	v_add_co_u32 v16, vcc_lo, v21, v16
	v_add_co_ci_u32_e32 v17, vcc_lo, v22, v17, vcc_lo
	v_add_co_u32 v18, vcc_lo, v21, v18
	v_add_co_ci_u32_e32 v19, vcc_lo, v22, v19, vcc_lo
	global_store_dwordx2 v[8:9], v[10:11], off
	s_waitcnt lgkmcnt(1)
	global_store_dwordx2 v[12:13], v[0:1], off
	global_store_dwordx2 v[14:15], v[2:3], off
	s_waitcnt lgkmcnt(0)
	global_store_dwordx2 v[16:17], v[4:5], off
	global_store_dwordx2 v[18:19], v[6:7], off
.LBB0_27:
	s_endpgm
	.section	.rodata,"a",@progbits
	.p2align	6, 0x0
	.amdhsa_kernel fft_rtc_fwd_len1950_factors_13_5_10_3_wgs_195_tpt_195_sp_op_CI_CI_unitstride_sbrr_C2R_dirReg
		.amdhsa_group_segment_fixed_size 0
		.amdhsa_private_segment_fixed_size 0
		.amdhsa_kernarg_size 104
		.amdhsa_user_sgpr_count 6
		.amdhsa_user_sgpr_private_segment_buffer 1
		.amdhsa_user_sgpr_dispatch_ptr 0
		.amdhsa_user_sgpr_queue_ptr 0
		.amdhsa_user_sgpr_kernarg_segment_ptr 1
		.amdhsa_user_sgpr_dispatch_id 0
		.amdhsa_user_sgpr_flat_scratch_init 0
		.amdhsa_user_sgpr_private_segment_size 0
		.amdhsa_wavefront_size32 1
		.amdhsa_uses_dynamic_stack 0
		.amdhsa_system_sgpr_private_segment_wavefront_offset 0
		.amdhsa_system_sgpr_workgroup_id_x 1
		.amdhsa_system_sgpr_workgroup_id_y 0
		.amdhsa_system_sgpr_workgroup_id_z 0
		.amdhsa_system_sgpr_workgroup_info 0
		.amdhsa_system_vgpr_workitem_id 0
		.amdhsa_next_free_vgpr 117
		.amdhsa_next_free_sgpr 27
		.amdhsa_reserve_vcc 1
		.amdhsa_reserve_flat_scratch 0
		.amdhsa_float_round_mode_32 0
		.amdhsa_float_round_mode_16_64 0
		.amdhsa_float_denorm_mode_32 3
		.amdhsa_float_denorm_mode_16_64 3
		.amdhsa_dx10_clamp 1
		.amdhsa_ieee_mode 1
		.amdhsa_fp16_overflow 0
		.amdhsa_workgroup_processor_mode 1
		.amdhsa_memory_ordered 1
		.amdhsa_forward_progress 0
		.amdhsa_shared_vgpr_count 0
		.amdhsa_exception_fp_ieee_invalid_op 0
		.amdhsa_exception_fp_denorm_src 0
		.amdhsa_exception_fp_ieee_div_zero 0
		.amdhsa_exception_fp_ieee_overflow 0
		.amdhsa_exception_fp_ieee_underflow 0
		.amdhsa_exception_fp_ieee_inexact 0
		.amdhsa_exception_int_div_zero 0
	.end_amdhsa_kernel
	.text
.Lfunc_end0:
	.size	fft_rtc_fwd_len1950_factors_13_5_10_3_wgs_195_tpt_195_sp_op_CI_CI_unitstride_sbrr_C2R_dirReg, .Lfunc_end0-fft_rtc_fwd_len1950_factors_13_5_10_3_wgs_195_tpt_195_sp_op_CI_CI_unitstride_sbrr_C2R_dirReg
                                        ; -- End function
	.section	.AMDGPU.csdata,"",@progbits
; Kernel info:
; codeLenInByte = 9668
; NumSgprs: 29
; NumVgprs: 117
; ScratchSize: 0
; MemoryBound: 0
; FloatMode: 240
; IeeeMode: 1
; LDSByteSize: 0 bytes/workgroup (compile time only)
; SGPRBlocks: 3
; VGPRBlocks: 14
; NumSGPRsForWavesPerEU: 29
; NumVGPRsForWavesPerEU: 117
; Occupancy: 8
; WaveLimiterHint : 1
; COMPUTE_PGM_RSRC2:SCRATCH_EN: 0
; COMPUTE_PGM_RSRC2:USER_SGPR: 6
; COMPUTE_PGM_RSRC2:TRAP_HANDLER: 0
; COMPUTE_PGM_RSRC2:TGID_X_EN: 1
; COMPUTE_PGM_RSRC2:TGID_Y_EN: 0
; COMPUTE_PGM_RSRC2:TGID_Z_EN: 0
; COMPUTE_PGM_RSRC2:TIDIG_COMP_CNT: 0
	.text
	.p2alignl 6, 3214868480
	.fill 48, 4, 3214868480
	.type	__hip_cuid_b66232134e808e1b,@object ; @__hip_cuid_b66232134e808e1b
	.section	.bss,"aw",@nobits
	.globl	__hip_cuid_b66232134e808e1b
__hip_cuid_b66232134e808e1b:
	.byte	0                               ; 0x0
	.size	__hip_cuid_b66232134e808e1b, 1

	.ident	"AMD clang version 19.0.0git (https://github.com/RadeonOpenCompute/llvm-project roc-6.4.0 25133 c7fe45cf4b819c5991fe208aaa96edf142730f1d)"
	.section	".note.GNU-stack","",@progbits
	.addrsig
	.addrsig_sym __hip_cuid_b66232134e808e1b
	.amdgpu_metadata
---
amdhsa.kernels:
  - .args:
      - .actual_access:  read_only
        .address_space:  global
        .offset:         0
        .size:           8
        .value_kind:     global_buffer
      - .offset:         8
        .size:           8
        .value_kind:     by_value
      - .actual_access:  read_only
        .address_space:  global
        .offset:         16
        .size:           8
        .value_kind:     global_buffer
      - .actual_access:  read_only
        .address_space:  global
        .offset:         24
        .size:           8
        .value_kind:     global_buffer
      - .actual_access:  read_only
        .address_space:  global
        .offset:         32
        .size:           8
        .value_kind:     global_buffer
      - .offset:         40
        .size:           8
        .value_kind:     by_value
      - .actual_access:  read_only
        .address_space:  global
        .offset:         48
        .size:           8
        .value_kind:     global_buffer
      - .actual_access:  read_only
        .address_space:  global
        .offset:         56
        .size:           8
        .value_kind:     global_buffer
      - .offset:         64
        .size:           4
        .value_kind:     by_value
      - .actual_access:  read_only
        .address_space:  global
        .offset:         72
        .size:           8
        .value_kind:     global_buffer
      - .actual_access:  read_only
        .address_space:  global
        .offset:         80
        .size:           8
        .value_kind:     global_buffer
      - .actual_access:  read_only
        .address_space:  global
        .offset:         88
        .size:           8
        .value_kind:     global_buffer
      - .actual_access:  write_only
        .address_space:  global
        .offset:         96
        .size:           8
        .value_kind:     global_buffer
    .group_segment_fixed_size: 0
    .kernarg_segment_align: 8
    .kernarg_segment_size: 104
    .language:       OpenCL C
    .language_version:
      - 2
      - 0
    .max_flat_workgroup_size: 195
    .name:           fft_rtc_fwd_len1950_factors_13_5_10_3_wgs_195_tpt_195_sp_op_CI_CI_unitstride_sbrr_C2R_dirReg
    .private_segment_fixed_size: 0
    .sgpr_count:     29
    .sgpr_spill_count: 0
    .symbol:         fft_rtc_fwd_len1950_factors_13_5_10_3_wgs_195_tpt_195_sp_op_CI_CI_unitstride_sbrr_C2R_dirReg.kd
    .uniform_work_group_size: 1
    .uses_dynamic_stack: false
    .vgpr_count:     117
    .vgpr_spill_count: 0
    .wavefront_size: 32
    .workgroup_processor_mode: 1
amdhsa.target:   amdgcn-amd-amdhsa--gfx1030
amdhsa.version:
  - 1
  - 2
...

	.end_amdgpu_metadata
